;; amdgpu-corpus repo=ROCm/rocFFT kind=compiled arch=gfx1030 opt=O3
	.text
	.amdgcn_target "amdgcn-amd-amdhsa--gfx1030"
	.amdhsa_code_object_version 6
	.protected	fft_rtc_fwd_len429_factors_13_3_11_wgs_117_tpt_39_dp_op_CI_CI_unitstride_sbrr_dirReg ; -- Begin function fft_rtc_fwd_len429_factors_13_3_11_wgs_117_tpt_39_dp_op_CI_CI_unitstride_sbrr_dirReg
	.globl	fft_rtc_fwd_len429_factors_13_3_11_wgs_117_tpt_39_dp_op_CI_CI_unitstride_sbrr_dirReg
	.p2align	8
	.type	fft_rtc_fwd_len429_factors_13_3_11_wgs_117_tpt_39_dp_op_CI_CI_unitstride_sbrr_dirReg,@function
fft_rtc_fwd_len429_factors_13_3_11_wgs_117_tpt_39_dp_op_CI_CI_unitstride_sbrr_dirReg: ; @fft_rtc_fwd_len429_factors_13_3_11_wgs_117_tpt_39_dp_op_CI_CI_unitstride_sbrr_dirReg
; %bb.0:
	s_load_dwordx4 s[12:15], s[4:5], 0x0
	v_mul_u32_u24_e32 v1, 0x691, v0
	s_clause 0x1
	s_load_dwordx4 s[8:11], s[4:5], 0x58
	s_load_dwordx4 s[16:19], s[4:5], 0x18
	v_mov_b32_e32 v3, 0
	v_lshrrev_b32_e32 v4, 16, v1
	v_mov_b32_e32 v1, 0
	v_mov_b32_e32 v2, 0
	v_mad_u64_u32 v[78:79], null, s6, 3, v[4:5]
	v_mov_b32_e32 v79, v3
	v_mov_b32_e32 v65, v2
	;; [unrolled: 1-line block ×4, first 2 shown]
	s_waitcnt lgkmcnt(0)
	v_cmp_lt_u64_e64 s0, s[14:15], 2
	v_mov_b32_e32 v68, v79
	s_and_b32 vcc_lo, exec_lo, s0
	s_cbranch_vccnz .LBB0_8
; %bb.1:
	s_load_dwordx2 s[0:1], s[4:5], 0x10
	v_mov_b32_e32 v1, 0
	v_mov_b32_e32 v2, 0
	s_add_u32 s2, s18, 8
	v_mov_b32_e32 v5, v78
	s_addc_u32 s3, s19, 0
	v_mov_b32_e32 v6, v79
	v_mov_b32_e32 v65, v2
	s_add_u32 s6, s16, 8
	v_mov_b32_e32 v64, v1
	s_addc_u32 s7, s17, 0
	s_mov_b64 s[22:23], 1
	s_waitcnt lgkmcnt(0)
	s_add_u32 s20, s0, 8
	s_addc_u32 s21, s1, 0
.LBB0_2:                                ; =>This Inner Loop Header: Depth=1
	s_load_dwordx2 s[24:25], s[20:21], 0x0
                                        ; implicit-def: $vgpr67_vgpr68
	s_mov_b32 s0, exec_lo
	s_waitcnt lgkmcnt(0)
	v_or_b32_e32 v4, s25, v6
	v_cmpx_ne_u64_e32 0, v[3:4]
	s_xor_b32 s1, exec_lo, s0
	s_cbranch_execz .LBB0_4
; %bb.3:                                ;   in Loop: Header=BB0_2 Depth=1
	v_cvt_f32_u32_e32 v4, s24
	v_cvt_f32_u32_e32 v7, s25
	s_sub_u32 s0, 0, s24
	s_subb_u32 s26, 0, s25
	v_fmac_f32_e32 v4, 0x4f800000, v7
	v_rcp_f32_e32 v4, v4
	v_mul_f32_e32 v4, 0x5f7ffffc, v4
	v_mul_f32_e32 v7, 0x2f800000, v4
	v_trunc_f32_e32 v7, v7
	v_fmac_f32_e32 v4, 0xcf800000, v7
	v_cvt_u32_f32_e32 v7, v7
	v_cvt_u32_f32_e32 v4, v4
	v_mul_lo_u32 v8, s0, v7
	v_mul_hi_u32 v9, s0, v4
	v_mul_lo_u32 v10, s26, v4
	v_add_nc_u32_e32 v8, v9, v8
	v_mul_lo_u32 v9, s0, v4
	v_add_nc_u32_e32 v8, v8, v10
	v_mul_hi_u32 v10, v4, v9
	v_mul_lo_u32 v11, v4, v8
	v_mul_hi_u32 v12, v4, v8
	v_mul_hi_u32 v13, v7, v9
	v_mul_lo_u32 v9, v7, v9
	v_mul_hi_u32 v14, v7, v8
	v_mul_lo_u32 v8, v7, v8
	v_add_co_u32 v10, vcc_lo, v10, v11
	v_add_co_ci_u32_e32 v11, vcc_lo, 0, v12, vcc_lo
	v_add_co_u32 v9, vcc_lo, v10, v9
	v_add_co_ci_u32_e32 v9, vcc_lo, v11, v13, vcc_lo
	v_add_co_ci_u32_e32 v10, vcc_lo, 0, v14, vcc_lo
	v_add_co_u32 v8, vcc_lo, v9, v8
	v_add_co_ci_u32_e32 v9, vcc_lo, 0, v10, vcc_lo
	v_add_co_u32 v4, vcc_lo, v4, v8
	v_add_co_ci_u32_e32 v7, vcc_lo, v7, v9, vcc_lo
	v_mul_hi_u32 v8, s0, v4
	v_mul_lo_u32 v10, s26, v4
	v_mul_lo_u32 v9, s0, v7
	v_add_nc_u32_e32 v8, v8, v9
	v_mul_lo_u32 v9, s0, v4
	v_add_nc_u32_e32 v8, v8, v10
	v_mul_hi_u32 v10, v4, v9
	v_mul_lo_u32 v11, v4, v8
	v_mul_hi_u32 v12, v4, v8
	v_mul_hi_u32 v13, v7, v9
	v_mul_lo_u32 v9, v7, v9
	v_mul_hi_u32 v14, v7, v8
	v_mul_lo_u32 v8, v7, v8
	v_add_co_u32 v10, vcc_lo, v10, v11
	v_add_co_ci_u32_e32 v11, vcc_lo, 0, v12, vcc_lo
	v_add_co_u32 v9, vcc_lo, v10, v9
	v_add_co_ci_u32_e32 v9, vcc_lo, v11, v13, vcc_lo
	v_add_co_ci_u32_e32 v10, vcc_lo, 0, v14, vcc_lo
	v_add_co_u32 v8, vcc_lo, v9, v8
	v_add_co_ci_u32_e32 v9, vcc_lo, 0, v10, vcc_lo
	v_add_co_u32 v4, vcc_lo, v4, v8
	v_add_co_ci_u32_e32 v11, vcc_lo, v7, v9, vcc_lo
	v_mul_hi_u32 v13, v5, v4
	v_mad_u64_u32 v[9:10], null, v6, v4, 0
	v_mad_u64_u32 v[7:8], null, v5, v11, 0
	;; [unrolled: 1-line block ×3, first 2 shown]
	v_add_co_u32 v4, vcc_lo, v13, v7
	v_add_co_ci_u32_e32 v7, vcc_lo, 0, v8, vcc_lo
	v_add_co_u32 v4, vcc_lo, v4, v9
	v_add_co_ci_u32_e32 v4, vcc_lo, v7, v10, vcc_lo
	v_add_co_ci_u32_e32 v7, vcc_lo, 0, v12, vcc_lo
	v_add_co_u32 v4, vcc_lo, v4, v11
	v_add_co_ci_u32_e32 v9, vcc_lo, 0, v7, vcc_lo
	v_mul_lo_u32 v10, s25, v4
	v_mad_u64_u32 v[7:8], null, s24, v4, 0
	v_mul_lo_u32 v11, s24, v9
	v_sub_co_u32 v7, vcc_lo, v5, v7
	v_add3_u32 v8, v8, v11, v10
	v_sub_nc_u32_e32 v10, v6, v8
	v_subrev_co_ci_u32_e64 v10, s0, s25, v10, vcc_lo
	v_add_co_u32 v11, s0, v4, 2
	v_add_co_ci_u32_e64 v12, s0, 0, v9, s0
	v_sub_co_u32 v13, s0, v7, s24
	v_sub_co_ci_u32_e32 v8, vcc_lo, v6, v8, vcc_lo
	v_subrev_co_ci_u32_e64 v10, s0, 0, v10, s0
	v_cmp_le_u32_e32 vcc_lo, s24, v13
	v_cmp_eq_u32_e64 s0, s25, v8
	v_cndmask_b32_e64 v13, 0, -1, vcc_lo
	v_cmp_le_u32_e32 vcc_lo, s25, v10
	v_cndmask_b32_e64 v14, 0, -1, vcc_lo
	v_cmp_le_u32_e32 vcc_lo, s24, v7
	;; [unrolled: 2-line block ×3, first 2 shown]
	v_cndmask_b32_e64 v15, 0, -1, vcc_lo
	v_cmp_eq_u32_e32 vcc_lo, s25, v10
	v_cndmask_b32_e64 v7, v15, v7, s0
	v_cndmask_b32_e32 v10, v14, v13, vcc_lo
	v_add_co_u32 v13, vcc_lo, v4, 1
	v_add_co_ci_u32_e32 v14, vcc_lo, 0, v9, vcc_lo
	v_cmp_ne_u32_e32 vcc_lo, 0, v10
	v_cndmask_b32_e32 v8, v14, v12, vcc_lo
	v_cndmask_b32_e32 v10, v13, v11, vcc_lo
	v_cmp_ne_u32_e32 vcc_lo, 0, v7
	v_cndmask_b32_e32 v68, v9, v8, vcc_lo
	v_cndmask_b32_e32 v67, v4, v10, vcc_lo
.LBB0_4:                                ;   in Loop: Header=BB0_2 Depth=1
	s_andn2_saveexec_b32 s0, s1
	s_cbranch_execz .LBB0_6
; %bb.5:                                ;   in Loop: Header=BB0_2 Depth=1
	v_cvt_f32_u32_e32 v4, s24
	s_sub_i32 s1, 0, s24
	v_mov_b32_e32 v68, v3
	v_rcp_iflag_f32_e32 v4, v4
	v_mul_f32_e32 v4, 0x4f7ffffe, v4
	v_cvt_u32_f32_e32 v4, v4
	v_mul_lo_u32 v7, s1, v4
	v_mul_hi_u32 v7, v4, v7
	v_add_nc_u32_e32 v4, v4, v7
	v_mul_hi_u32 v4, v5, v4
	v_mul_lo_u32 v7, v4, s24
	v_add_nc_u32_e32 v8, 1, v4
	v_sub_nc_u32_e32 v7, v5, v7
	v_subrev_nc_u32_e32 v9, s24, v7
	v_cmp_le_u32_e32 vcc_lo, s24, v7
	v_cndmask_b32_e32 v7, v7, v9, vcc_lo
	v_cndmask_b32_e32 v4, v4, v8, vcc_lo
	v_cmp_le_u32_e32 vcc_lo, s24, v7
	v_add_nc_u32_e32 v8, 1, v4
	v_cndmask_b32_e32 v67, v4, v8, vcc_lo
.LBB0_6:                                ;   in Loop: Header=BB0_2 Depth=1
	s_or_b32 exec_lo, exec_lo, s0
	v_mul_lo_u32 v4, v68, s24
	v_mul_lo_u32 v9, v67, s25
	s_load_dwordx2 s[0:1], s[6:7], 0x0
	v_mad_u64_u32 v[7:8], null, v67, s24, 0
	s_load_dwordx2 s[24:25], s[2:3], 0x0
	s_add_u32 s22, s22, 1
	s_addc_u32 s23, s23, 0
	s_add_u32 s2, s2, 8
	s_addc_u32 s3, s3, 0
	s_add_u32 s6, s6, 8
	v_add3_u32 v4, v8, v9, v4
	v_sub_co_u32 v5, vcc_lo, v5, v7
	s_addc_u32 s7, s7, 0
	s_add_u32 s20, s20, 8
	v_sub_co_ci_u32_e32 v4, vcc_lo, v6, v4, vcc_lo
	s_addc_u32 s21, s21, 0
	s_waitcnt lgkmcnt(0)
	v_mul_lo_u32 v6, s0, v4
	v_mul_lo_u32 v7, s1, v5
	v_mad_u64_u32 v[1:2], null, s0, v5, v[1:2]
	v_mul_lo_u32 v4, s24, v4
	v_mul_lo_u32 v8, s25, v5
	v_mad_u64_u32 v[64:65], null, s24, v5, v[64:65]
	v_cmp_ge_u64_e64 s0, s[22:23], s[14:15]
	v_add3_u32 v2, v7, v2, v6
	v_add3_u32 v65, v8, v65, v4
	s_and_b32 vcc_lo, exec_lo, s0
	s_cbranch_vccnz .LBB0_8
; %bb.7:                                ;   in Loop: Header=BB0_2 Depth=1
	v_mov_b32_e32 v5, v67
	v_mov_b32_e32 v6, v68
	s_branch .LBB0_2
.LBB0_8:
	s_load_dwordx2 s[0:1], s[4:5], 0x28
	s_lshl_b64 s[4:5], s[14:15], 3
	v_mul_hi_u32 v3, 0x6906907, v0
	s_add_u32 s2, s18, s4
	s_addc_u32 s3, s19, s5
	v_mov_b32_e32 v66, 0
	s_load_dwordx2 s[2:3], s[2:3], 0x0
                                        ; implicit-def: $vgpr18_vgpr19
                                        ; implicit-def: $vgpr22_vgpr23
                                        ; implicit-def: $vgpr26_vgpr27
                                        ; implicit-def: $vgpr30_vgpr31
                                        ; implicit-def: $vgpr34_vgpr35
                                        ; implicit-def: $vgpr38_vgpr39
                                        ; implicit-def: $vgpr42_vgpr43
                                        ; implicit-def: $vgpr58_vgpr59
                                        ; implicit-def: $vgpr62_vgpr63
                                        ; implicit-def: $vgpr46_vgpr47
                                        ; implicit-def: $vgpr54_vgpr55
                                        ; implicit-def: $vgpr50_vgpr51
                                        ; implicit-def: $vgpr14_vgpr15
	v_mul_u32_u24_e32 v3, 39, v3
	v_sub_nc_u32_e32 v69, v0, v3
	s_waitcnt lgkmcnt(0)
	v_cmp_gt_u64_e32 vcc_lo, s[0:1], v[67:68]
	s_and_saveexec_b32 s1, vcc_lo
	s_cbranch_execz .LBB0_12
; %bb.9:
	s_mov_b32 s6, exec_lo
                                        ; implicit-def: $vgpr12_vgpr13
                                        ; implicit-def: $vgpr48_vgpr49
                                        ; implicit-def: $vgpr52_vgpr53
                                        ; implicit-def: $vgpr44_vgpr45
                                        ; implicit-def: $vgpr60_vgpr61
                                        ; implicit-def: $vgpr56_vgpr57
                                        ; implicit-def: $vgpr40_vgpr41
                                        ; implicit-def: $vgpr36_vgpr37
                                        ; implicit-def: $vgpr32_vgpr33
                                        ; implicit-def: $vgpr28_vgpr29
                                        ; implicit-def: $vgpr24_vgpr25
                                        ; implicit-def: $vgpr20_vgpr21
                                        ; implicit-def: $vgpr16_vgpr17
	v_cmpx_gt_u32_e32 33, v69
	s_cbranch_execz .LBB0_11
; %bb.10:
	s_add_u32 s4, s16, s4
	s_addc_u32 s5, s17, s5
	v_mov_b32_e32 v70, 0
	s_load_dwordx2 s[4:5], s[4:5], 0x0
	s_waitcnt lgkmcnt(0)
	v_mul_lo_u32 v0, s5, v67
	v_mul_lo_u32 v5, s4, v68
	v_mad_u64_u32 v[3:4], null, s4, v67, 0
	v_add3_u32 v4, v4, v5, v0
	v_lshlrev_b64 v[0:1], 4, v[1:2]
	v_lshlrev_b64 v[3:4], 4, v[3:4]
	v_add_co_u32 v5, s0, s8, v3
	v_add_co_ci_u32_e64 v4, s0, s9, v4, s0
	v_lshlrev_b64 v[2:3], 4, v[69:70]
	v_add_co_u32 v0, s0, v5, v0
	v_add_co_ci_u32_e64 v1, s0, v4, v1, s0
	v_add_co_u32 v0, s0, v0, v2
	v_add_co_ci_u32_e64 v1, s0, v1, v3, s0
	s_clause 0x3
	global_load_dwordx4 v[12:15], v[0:1], off
	global_load_dwordx4 v[48:51], v[0:1], off offset:528
	global_load_dwordx4 v[52:55], v[0:1], off offset:1056
	;; [unrolled: 1-line block ×3, first 2 shown]
	v_add_co_u32 v2, s0, 0x800, v0
	v_add_co_ci_u32_e64 v3, s0, 0, v1, s0
	v_add_co_u32 v4, s0, 0x1000, v0
	v_add_co_ci_u32_e64 v5, s0, 0, v1, s0
	;; [unrolled: 2-line block ×3, first 2 shown]
	s_clause 0x8
	global_load_dwordx4 v[60:63], v[2:3], off offset:64
	global_load_dwordx4 v[56:59], v[2:3], off offset:592
	global_load_dwordx4 v[40:43], v[2:3], off offset:1120
	global_load_dwordx4 v[36:39], v[2:3], off offset:1648
	global_load_dwordx4 v[32:35], v[4:5], off offset:128
	global_load_dwordx4 v[28:31], v[4:5], off offset:656
	global_load_dwordx4 v[24:27], v[4:5], off offset:1184
	global_load_dwordx4 v[20:23], v[4:5], off offset:1712
	global_load_dwordx4 v[16:19], v[0:1], off offset:192
.LBB0_11:
	s_or_b32 exec_lo, exec_lo, s6
	v_mov_b32_e32 v66, v69
.LBB0_12:
	s_or_b32 exec_lo, exec_lo, s1
	s_waitcnt vmcnt(0)
	v_add_f64 v[79:80], v[16:17], v[48:49]
	v_add_f64 v[97:98], v[48:49], -v[16:17]
	s_mov_b32 s6, 0x1ea71119
	s_mov_b32 s16, 0x42a4c3d2
	;; [unrolled: 1-line block ×12, first 2 shown]
	v_add_f64 v[95:96], v[50:51], -v[18:19]
	v_add_f64 v[70:71], v[20:21], v[52:53]
	v_add_f64 v[99:100], v[18:19], v[50:51]
	v_add_f64 v[76:77], v[52:53], -v[20:21]
	s_mov_b32 s8, 0x93053d00
	s_mov_b32 s24, 0x4bc48dbf
	;; [unrolled: 1-line block ×4, first 2 shown]
	v_mul_f64 v[121:122], v[79:80], s[6:7]
	v_mul_f64 v[123:124], v[97:98], s[16:17]
	;; [unrolled: 1-line block ×6, first 2 shown]
	s_mov_b32 s9, 0xbfef11f4
	s_mov_b32 s25, 0xbfcea1e5
	;; [unrolled: 1-line block ×4, first 2 shown]
	v_add_f64 v[74:75], v[54:55], -v[22:23]
	v_add_f64 v[72:73], v[22:23], v[54:55]
	v_add_f64 v[81:82], v[24:25], v[44:45]
	v_add_f64 v[93:94], v[44:45], -v[24:25]
	s_mov_b32 s26, 0xe00740e9
	v_mul_f64 v[141:142], v[70:71], s[4:5]
	v_mul_f64 v[127:128], v[70:71], s[8:9]
	;; [unrolled: 1-line block ×6, first 2 shown]
	s_mov_b32 s37, 0x3fedeba7
	v_fma_f64 v[0:1], v[95:96], s[16:17], v[121:122]
	v_fma_f64 v[2:3], v[99:100], s[6:7], -v[123:124]
	v_fma_f64 v[4:5], v[95:96], s[22:23], v[155:156]
	v_fma_f64 v[6:7], v[99:100], s[18:19], -v[163:164]
	v_fma_f64 v[8:9], v[95:96], s[14:15], v[183:184]
	v_fma_f64 v[10:11], v[99:100], s[4:5], -v[189:190]
	s_mov_b32 s36, s14
	s_mov_b32 s27, 0x3fec55a7
	;; [unrolled: 1-line block ×4, first 2 shown]
	v_add_f64 v[91:92], v[46:47], -v[26:27]
	v_add_f64 v[83:84], v[26:27], v[46:47]
	v_add_f64 v[85:86], v[28:29], v[60:61]
	v_add_f64 v[107:108], v[60:61], -v[28:29]
	v_mul_f64 v[149:150], v[81:82], s[8:9]
	v_mul_f64 v[153:154], v[93:94], s[24:25]
	;; [unrolled: 1-line block ×4, first 2 shown]
	v_fma_f64 v[103:104], v[74:75], s[14:15], v[141:142]
	v_fma_f64 v[105:106], v[72:73], s[4:5], -v[147:148]
	v_fma_f64 v[109:110], v[74:75], s[24:25], v[127:128]
	v_fma_f64 v[113:114], v[72:73], s[8:9], -v[129:130]
	v_add_f64 v[0:1], v[12:13], v[0:1]
	v_add_f64 v[2:3], v[14:15], v[2:3]
	;; [unrolled: 1-line block ×4, first 2 shown]
	v_mul_f64 v[131:132], v[81:82], s[26:27]
	v_fma_f64 v[115:116], v[74:75], s[28:29], v[117:118]
	v_add_f64 v[8:9], v[12:13], v[8:9]
	v_mul_f64 v[137:138], v[93:94], s[42:43]
	v_fma_f64 v[157:158], v[72:73], s[20:21], -v[125:126]
	v_add_f64 v[10:11], v[14:15], v[10:11]
	v_add_f64 v[101:102], v[62:63], -v[30:31]
	v_add_f64 v[89:90], v[30:31], v[62:63]
	v_add_f64 v[87:88], v[32:33], v[56:57]
	v_add_f64 v[111:112], v[56:57], -v[32:33]
	v_mul_f64 v[159:160], v[85:86], s[20:21]
	v_mul_f64 v[161:162], v[107:108], s[28:29]
	;; [unrolled: 1-line block ×4, first 2 shown]
	v_fma_f64 v[165:166], v[91:92], s[24:25], v[149:150]
	v_fma_f64 v[167:168], v[83:84], s[8:9], -v[153:154]
	v_fma_f64 v[169:170], v[91:92], s[36:37], v[133:134]
	v_fma_f64 v[171:172], v[83:84], s[4:5], -v[135:136]
	v_add_f64 v[0:1], v[103:104], v[0:1]
	v_add_f64 v[2:3], v[105:106], v[2:3]
	;; [unrolled: 1-line block ×4, first 2 shown]
	v_mul_f64 v[139:140], v[85:86], s[18:19]
	v_fma_f64 v[179:180], v[91:92], s[42:43], v[131:132]
	v_add_f64 v[8:9], v[115:116], v[8:9]
	v_mul_f64 v[151:152], v[107:108], s[22:23]
	v_fma_f64 v[181:182], v[83:84], s[26:27], -v[137:138]
	v_add_f64 v[10:11], v[157:158], v[10:11]
	s_mov_b32 s31, 0x3fefc445
	s_mov_b32 s30, s22
	;; [unrolled: 1-line block ×4, first 2 shown]
	v_add_f64 v[119:120], v[58:59], -v[34:35]
	v_add_f64 v[105:106], v[34:35], v[58:59]
	v_add_f64 v[103:104], v[36:37], v[40:41]
	v_add_f64 v[113:114], v[40:41], -v[36:37]
	v_mul_f64 v[173:174], v[87:88], s[18:19]
	v_mul_f64 v[177:178], v[111:112], s[30:31]
	v_fma_f64 v[191:192], v[101:102], s[28:29], v[159:160]
	v_fma_f64 v[193:194], v[89:90], s[20:21], -v[161:162]
	v_fma_f64 v[195:196], v[101:102], s[42:43], v[143:144]
	v_fma_f64 v[197:198], v[89:90], s[26:27], -v[145:146]
	v_add_f64 v[0:1], v[165:166], v[0:1]
	v_add_f64 v[2:3], v[167:168], v[2:3]
	;; [unrolled: 1-line block ×4, first 2 shown]
	v_mul_f64 v[171:172], v[87:88], s[6:7]
	v_mul_f64 v[175:176], v[111:112], s[16:17]
	v_mul_f64 v[157:158], v[87:88], s[8:9]
	v_fma_f64 v[199:200], v[101:102], s[22:23], v[139:140]
	v_add_f64 v[8:9], v[179:180], v[8:9]
	v_mul_f64 v[165:166], v[111:112], s[34:35]
	v_fma_f64 v[201:202], v[89:90], s[18:19], -v[151:152]
	v_add_f64 v[10:11], v[181:182], v[10:11]
	s_mov_b32 s39, 0xbfe5384d
	s_mov_b32 s38, s28
	;; [unrolled: 1-line block ×4, first 2 shown]
	v_add_f64 v[115:116], v[42:43], -v[38:39]
	v_add_f64 v[109:110], v[38:39], v[42:43]
	v_mul_f64 v[185:186], v[103:104], s[26:27]
	v_mul_f64 v[187:188], v[113:114], s[42:43]
	v_fma_f64 v[203:204], v[119:120], s[30:31], v[173:174]
	v_fma_f64 v[205:206], v[105:106], s[18:19], -v[177:178]
	v_add_f64 v[0:1], v[191:192], v[0:1]
	v_add_f64 v[2:3], v[193:194], v[2:3]
	;; [unrolled: 1-line block ×4, first 2 shown]
	v_mul_f64 v[179:180], v[103:104], s[20:21]
	v_mul_f64 v[181:182], v[113:114], s[38:39]
	;; [unrolled: 1-line block ×4, first 2 shown]
	v_fma_f64 v[191:192], v[119:120], s[16:17], v[171:172]
	v_fma_f64 v[193:194], v[105:106], s[6:7], -v[175:176]
	v_add_f64 v[8:9], v[199:200], v[8:9]
	v_fma_f64 v[195:196], v[119:120], s[34:35], v[157:158]
	v_fma_f64 v[197:198], v[105:106], s[8:9], -v[165:166]
	v_add_f64 v[10:11], v[201:202], v[10:11]
	s_mov_b32 s1, exec_lo
	v_fma_f64 v[199:200], v[115:116], s[42:43], v[185:186]
	v_fma_f64 v[201:202], v[109:110], s[26:27], -v[187:188]
	v_add_f64 v[0:1], v[203:204], v[0:1]
	v_add_f64 v[2:3], v[205:206], v[2:3]
	v_fma_f64 v[207:208], v[115:116], s[38:39], v[179:180]
	v_fma_f64 v[209:210], v[109:110], s[20:21], -v[181:182]
	v_fma_f64 v[211:212], v[115:116], s[40:41], v[167:168]
	v_fma_f64 v[213:214], v[109:110], s[6:7], -v[169:170]
	v_add_f64 v[4:5], v[191:192], v[4:5]
	v_add_f64 v[6:7], v[193:194], v[6:7]
	;; [unrolled: 1-line block ×3, first 2 shown]
	v_mul_hi_u32 v8, 0xaaaaaaab, v78
	v_add_f64 v[193:194], v[197:198], v[10:11]
	v_lshrrev_b32_e32 v195, 1, v8
	v_add_f64 v[8:9], v[199:200], v[0:1]
	v_add_f64 v[10:11], v[201:202], v[2:3]
	;; [unrolled: 1-line block ×5, first 2 shown]
	v_lshl_add_u32 v191, v195, 1, v195
	v_add_f64 v[2:3], v[213:214], v[193:194]
	v_sub_nc_u32_e32 v78, v78, v191
	v_mul_u32_u24_e32 v78, 0x1ad, v78
	v_lshlrev_b32_e32 v78, 4, v78
	v_cmpx_gt_u32_e32 33, v69
	s_cbranch_execz .LBB0_14
; %bb.13:
	v_add_f64 v[50:51], v[50:51], v[14:15]
	v_add_f64 v[48:49], v[48:49], v[12:13]
	v_mul_f64 v[191:192], v[115:116], s[30:31]
	v_add_f64 v[50:51], v[54:55], v[50:51]
	v_add_f64 v[48:49], v[52:53], v[48:49]
	;; [unrolled: 1-line block ×4, first 2 shown]
	v_mul_f64 v[48:49], v[97:98], s[38:39]
	v_add_f64 v[46:47], v[62:63], v[46:47]
	v_add_f64 v[44:45], v[60:61], v[44:45]
	v_mul_f64 v[60:61], v[95:96], s[38:39]
	v_fma_f64 v[54:55], v[99:100], s[20:21], -v[48:49]
	v_fma_f64 v[48:49], v[99:100], s[20:21], v[48:49]
	v_add_f64 v[46:47], v[58:59], v[46:47]
	v_add_f64 v[44:45], v[56:57], v[44:45]
	v_mul_f64 v[58:59], v[95:96], s[24:25]
	v_add_f64 v[54:55], v[14:15], v[54:55]
	v_add_f64 v[42:43], v[42:43], v[46:47]
	;; [unrolled: 1-line block ×3, first 2 shown]
	v_mul_f64 v[44:45], v[111:112], s[42:43]
	v_mul_f64 v[46:47], v[119:120], s[42:43]
	v_add_f64 v[38:39], v[38:39], v[42:43]
	v_add_f64 v[36:37], v[36:37], v[40:41]
	v_mul_f64 v[40:41], v[76:77], s[42:43]
	v_mul_f64 v[42:43], v[74:75], s[42:43]
	v_add_f64 v[34:35], v[34:35], v[38:39]
	v_add_f64 v[32:33], v[32:33], v[36:37]
	;; [unrolled: 4-line block ×3, first 2 shown]
	v_mul_f64 v[32:33], v[91:92], s[42:43]
	v_mul_f64 v[34:35], v[101:102], s[42:43]
	s_mov_b32 s43, 0xbfddbe06
	v_fma_f64 v[52:53], v[99:100], s[8:9], -v[38:39]
	v_mul_f64 v[50:51], v[97:98], s[42:43]
	v_mul_f64 v[62:63], v[95:96], s[42:43]
	v_fma_f64 v[38:39], v[99:100], s[8:9], v[38:39]
	v_fma_f64 v[97:98], v[79:80], s[20:21], v[60:61]
	v_fma_f64 v[60:61], v[79:80], s[20:21], -v[60:61]
	v_add_f64 v[36:37], v[185:186], -v[36:37]
	v_add_f64 v[26:27], v[26:27], v[30:31]
	v_add_f64 v[24:25], v[24:25], v[28:29]
	v_mul_f64 v[28:29], v[95:96], s[22:23]
	v_mul_f64 v[30:31], v[95:96], s[16:17]
	v_add_f64 v[34:35], v[143:144], -v[34:35]
	v_add_f64 v[52:53], v[14:15], v[52:53]
	v_fma_f64 v[56:57], v[99:100], s[26:27], v[50:51]
	v_fma_f64 v[50:51], v[99:100], s[26:27], -v[50:51]
	v_add_f64 v[32:33], v[131:132], -v[32:33]
	v_add_f64 v[60:61], v[12:13], v[60:61]
	v_add_f64 v[22:23], v[22:23], v[26:27]
	;; [unrolled: 1-line block ×3, first 2 shown]
	v_mul_f64 v[24:25], v[95:96], s[14:15]
	v_mul_f64 v[26:27], v[99:100], s[6:7]
	v_add_f64 v[28:29], v[155:156], -v[28:29]
	v_add_f64 v[30:31], v[121:122], -v[30:31]
	v_fma_f64 v[95:96], v[79:80], s[8:9], v[58:59]
	v_fma_f64 v[58:59], v[79:80], s[8:9], -v[58:59]
	v_add_f64 v[56:57], v[14:15], v[56:57]
	v_add_f64 v[50:51], v[14:15], v[50:51]
	v_mul_f64 v[155:156], v[101:102], s[40:41]
	v_add_f64 v[18:19], v[18:19], v[22:23]
	v_add_f64 v[16:17], v[16:17], v[20:21]
	v_mul_f64 v[20:21], v[99:100], s[4:5]
	v_mul_f64 v[22:23], v[99:100], s[18:19]
	v_add_f64 v[24:25], v[183:184], -v[24:25]
	v_add_f64 v[26:27], v[26:27], v[123:124]
	v_fma_f64 v[99:100], v[79:80], s[26:27], -v[62:63]
	v_fma_f64 v[62:63], v[79:80], s[26:27], v[62:63]
	v_add_f64 v[79:80], v[12:13], v[95:96]
	v_add_f64 v[95:96], v[14:15], v[38:39]
	;; [unrolled: 1-line block ×5, first 2 shown]
	v_mul_f64 v[123:124], v[107:108], s[40:41]
	v_mul_f64 v[183:184], v[119:120], s[14:15]
	v_add_f64 v[20:21], v[20:21], v[189:190]
	v_add_f64 v[22:23], v[22:23], v[163:164]
	v_mul_f64 v[163:164], v[111:112], s[14:15]
	v_mul_f64 v[189:190], v[113:114], s[30:31]
	v_add_f64 v[99:100], v[12:13], v[99:100]
	v_add_f64 v[62:63], v[12:13], v[62:63]
	v_mul_f64 v[111:112], v[111:112], s[38:39]
	v_add_f64 v[97:98], v[14:15], v[20:21]
	v_add_f64 v[121:122], v[14:15], v[22:23]
	;; [unrolled: 1-line block ×6, first 2 shown]
	v_fma_f64 v[12:13], v[72:73], s[26:27], -v[40:41]
	v_fma_f64 v[14:15], v[70:71], s[26:27], v[42:43]
	v_mul_f64 v[30:31], v[74:75], s[14:15]
	v_fma_f64 v[40:41], v[72:73], s[26:27], v[40:41]
	v_fma_f64 v[42:43], v[70:71], s[26:27], -v[42:43]
	v_add_f64 v[12:13], v[12:13], v[52:53]
	v_mul_f64 v[52:53], v[93:94], s[38:39]
	v_add_f64 v[14:15], v[14:15], v[79:80]
	v_mul_f64 v[79:80], v[91:92], s[38:39]
	v_add_f64 v[30:31], v[141:142], -v[30:31]
	v_mul_f64 v[141:142], v[83:84], s[8:9]
	v_add_f64 v[40:41], v[40:41], v[95:96]
	v_add_f64 v[42:43], v[42:43], v[58:59]
	v_fma_f64 v[58:59], v[103:104], s[18:19], -v[191:192]
	v_fma_f64 v[24:25], v[83:84], s[20:21], -v[52:53]
	v_fma_f64 v[52:53], v[83:84], s[20:21], v[52:53]
	v_add_f64 v[22:23], v[30:31], v[22:23]
	v_add_f64 v[141:142], v[141:142], v[153:154]
	v_mul_f64 v[153:154], v[101:102], s[28:29]
	v_mul_f64 v[30:31], v[119:120], s[30:31]
	v_add_f64 v[12:13], v[24:25], v[12:13]
	v_fma_f64 v[24:25], v[81:82], s[20:21], v[79:80]
	v_add_f64 v[40:41], v[52:53], v[40:41]
	v_fma_f64 v[52:53], v[81:82], s[20:21], -v[79:80]
	v_add_f64 v[153:154], v[159:160], -v[153:154]
	v_add_f64 v[30:31], v[173:174], -v[30:31]
	v_add_f64 v[14:15], v[24:25], v[14:15]
	v_fma_f64 v[24:25], v[89:90], s[6:7], -v[123:124]
	v_add_f64 v[42:43], v[52:53], v[42:43]
	v_fma_f64 v[52:53], v[89:90], s[6:7], v[123:124]
	v_add_f64 v[12:13], v[24:25], v[12:13]
	v_fma_f64 v[24:25], v[85:86], s[6:7], v[155:156]
	v_add_f64 v[40:41], v[52:53], v[40:41]
	v_fma_f64 v[52:53], v[85:86], s[6:7], -v[155:156]
	v_add_f64 v[14:15], v[24:25], v[14:15]
	v_fma_f64 v[24:25], v[105:106], s[4:5], -v[163:164]
	v_add_f64 v[42:43], v[52:53], v[42:43]
	v_fma_f64 v[52:53], v[105:106], s[4:5], v[163:164]
	v_add_f64 v[12:13], v[24:25], v[12:13]
	v_fma_f64 v[24:25], v[87:88], s[4:5], v[183:184]
	v_add_f64 v[40:41], v[52:53], v[40:41]
	v_fma_f64 v[52:53], v[87:88], s[4:5], -v[183:184]
	v_add_f64 v[24:25], v[24:25], v[14:15]
	v_fma_f64 v[14:15], v[109:110], s[18:19], -v[189:190]
	v_add_f64 v[52:53], v[52:53], v[42:43]
	v_fma_f64 v[42:43], v[109:110], s[18:19], v[189:190]
	v_add_f64 v[14:15], v[14:15], v[12:13]
	v_fma_f64 v[12:13], v[103:104], s[18:19], v[191:192]
	v_add_f64 v[42:43], v[42:43], v[40:41]
	v_add_f64 v[40:41], v[58:59], v[52:53]
	;; [unrolled: 1-line block ×3, first 2 shown]
	v_mul_f64 v[24:25], v[72:73], s[4:5]
	v_add_f64 v[24:25], v[24:25], v[147:148]
	v_mul_f64 v[147:148], v[91:92], s[24:25]
	v_add_f64 v[20:21], v[24:25], v[20:21]
	v_add_f64 v[147:148], v[149:150], -v[147:148]
	v_mul_f64 v[149:150], v[89:90], s[20:21]
	v_mul_f64 v[24:25], v[105:106], s[18:19]
	v_add_f64 v[20:21], v[141:142], v[20:21]
	v_add_f64 v[22:23], v[147:148], v[22:23]
	;; [unrolled: 1-line block ×4, first 2 shown]
	v_mul_f64 v[141:142], v[109:110], s[26:27]
	v_add_f64 v[22:23], v[153:154], v[22:23]
	v_add_f64 v[20:21], v[149:150], v[20:21]
	v_add_f64 v[141:142], v[141:142], v[187:188]
	v_add_f64 v[20:21], v[24:25], v[20:21]
	v_add_f64 v[24:25], v[30:31], v[22:23]
	v_mul_f64 v[30:31], v[74:75], s[24:25]
	v_add_f64 v[22:23], v[141:142], v[20:21]
	v_add_f64 v[20:21], v[36:37], v[24:25]
	v_mul_f64 v[24:25], v[72:73], s[8:9]
	v_add_f64 v[30:31], v[127:128], -v[30:31]
	v_mul_f64 v[36:37], v[83:84], s[4:5]
	v_mul_f64 v[127:128], v[91:92], s[36:37]
	v_add_f64 v[24:25], v[24:25], v[129:130]
	v_mul_f64 v[129:130], v[89:90], s[26:27]
	v_add_f64 v[36:37], v[36:37], v[135:136]
	v_add_f64 v[127:128], v[133:134], -v[127:128]
	v_add_f64 v[26:27], v[30:31], v[26:27]
	v_mul_f64 v[133:134], v[105:106], s[6:7]
	v_mul_f64 v[30:31], v[119:120], s[16:17]
	v_add_f64 v[24:25], v[24:25], v[121:122]
	v_add_f64 v[129:130], v[129:130], v[145:146]
	v_mul_f64 v[121:122], v[105:106], s[8:9]
	v_add_f64 v[26:27], v[127:128], v[26:27]
	v_add_f64 v[133:134], v[133:134], v[175:176]
	v_add_f64 v[30:31], v[171:172], -v[30:31]
	v_mul_f64 v[127:128], v[113:114], s[24:25]
	v_mul_f64 v[113:114], v[113:114], s[14:15]
	v_add_f64 v[24:25], v[36:37], v[24:25]
	v_mul_f64 v[36:37], v[109:110], s[20:21]
	v_add_f64 v[121:122], v[121:122], v[165:166]
	v_add_f64 v[26:27], v[34:35], v[26:27]
	v_mul_f64 v[34:35], v[115:116], s[38:39]
	v_add_f64 v[24:25], v[129:130], v[24:25]
	;; [unrolled: 3-line block ×3, first 2 shown]
	v_add_f64 v[34:35], v[179:180], -v[34:35]
	v_add_f64 v[24:25], v[133:134], v[24:25]
	v_add_f64 v[26:27], v[36:37], v[24:25]
	;; [unrolled: 1-line block ×3, first 2 shown]
	v_mul_f64 v[30:31], v[72:73], s[20:21]
	v_mul_f64 v[34:35], v[83:84], s[26:27]
	;; [unrolled: 1-line block ×3, first 2 shown]
	v_add_f64 v[30:31], v[30:31], v[125:126]
	v_mul_f64 v[125:126], v[74:75], s[28:29]
	v_add_f64 v[34:35], v[34:35], v[137:138]
	v_add_f64 v[36:37], v[36:37], v[151:152]
	;; [unrolled: 1-line block ×3, first 2 shown]
	v_add_f64 v[117:118], v[117:118], -v[125:126]
	v_mul_f64 v[125:126], v[101:102], s[22:23]
	v_mul_f64 v[97:98], v[119:120], s[34:35]
	;; [unrolled: 1-line block ×3, first 2 shown]
	v_add_f64 v[30:31], v[34:35], v[30:31]
	v_add_f64 v[28:29], v[117:118], v[28:29]
	v_add_f64 v[125:126], v[139:140], -v[125:126]
	v_add_f64 v[97:98], v[157:158], -v[97:98]
	v_mul_f64 v[34:35], v[115:116], s[40:41]
	v_mul_f64 v[117:118], v[91:92], s[22:23]
	;; [unrolled: 1-line block ×4, first 2 shown]
	v_add_f64 v[30:31], v[36:37], v[30:31]
	v_add_f64 v[28:29], v[32:33], v[28:29]
	v_mul_f64 v[32:33], v[109:110], s[6:7]
	v_add_f64 v[34:35], v[167:168], -v[34:35]
	v_add_f64 v[30:31], v[121:122], v[30:31]
	v_add_f64 v[28:29], v[125:126], v[28:29]
	;; [unrolled: 1-line block ×3, first 2 shown]
	v_mul_f64 v[121:122], v[107:108], s[14:15]
	v_mul_f64 v[125:126], v[101:102], s[14:15]
	;; [unrolled: 1-line block ×3, first 2 shown]
	v_add_f64 v[28:29], v[97:98], v[28:29]
	v_mul_f64 v[97:98], v[76:77], s[16:17]
	v_add_f64 v[30:31], v[32:33], v[30:31]
	v_mul_f64 v[76:77], v[76:77], s[30:31]
	v_add_f64 v[28:29], v[34:35], v[28:29]
	v_fma_f64 v[32:33], v[72:73], s[6:7], v[97:98]
	v_fma_f64 v[52:53], v[72:73], s[18:19], -v[76:77]
	v_add_f64 v[32:33], v[32:33], v[56:57]
	v_mul_f64 v[56:57], v[74:75], s[16:17]
	v_mul_f64 v[74:75], v[74:75], s[30:31]
	v_add_f64 v[52:53], v[52:53], v[54:55]
	v_fma_f64 v[34:35], v[70:71], s[6:7], -v[56:57]
	v_fma_f64 v[54:55], v[70:71], s[18:19], v[74:75]
	v_add_f64 v[34:35], v[34:35], v[99:100]
	v_mul_f64 v[99:100], v[93:94], s[22:23]
	v_add_f64 v[48:49], v[54:55], v[48:49]
	v_fma_f64 v[36:37], v[83:84], s[18:19], v[99:100]
	v_add_f64 v[32:33], v[36:37], v[32:33]
	v_fma_f64 v[36:37], v[81:82], s[18:19], -v[117:118]
	v_add_f64 v[34:35], v[36:37], v[34:35]
	v_fma_f64 v[36:37], v[89:90], s[4:5], v[121:122]
	v_add_f64 v[32:33], v[36:37], v[32:33]
	v_fma_f64 v[36:37], v[85:86], s[4:5], -v[125:126]
	;; [unrolled: 4-line block ×5, first 2 shown]
	v_add_f64 v[38:39], v[38:39], v[60:61]
	v_mul_f64 v[60:61], v[93:94], s[16:17]
	v_fma_f64 v[93:94], v[83:84], s[6:7], v[60:61]
	v_fma_f64 v[54:55], v[83:84], s[6:7], -v[60:61]
	v_add_f64 v[36:37], v[93:94], v[36:37]
	v_fma_f64 v[93:94], v[81:82], s[6:7], -v[91:92]
	v_add_f64 v[52:53], v[54:55], v[52:53]
	v_add_f64 v[38:39], v[93:94], v[38:39]
	v_mul_f64 v[93:94], v[107:108], s[34:35]
	v_fma_f64 v[107:108], v[89:90], s[8:9], v[93:94]
	v_fma_f64 v[54:55], v[89:90], s[8:9], -v[93:94]
	v_add_f64 v[36:37], v[107:108], v[36:37]
	v_fma_f64 v[107:108], v[105:106], s[26:27], v[44:45]
	v_add_f64 v[52:53], v[54:55], v[52:53]
	v_fma_f64 v[54:55], v[81:82], s[6:7], v[91:92]
	v_fma_f64 v[44:45], v[105:106], s[26:27], -v[44:45]
	v_add_f64 v[36:37], v[107:108], v[36:37]
	v_fma_f64 v[107:108], v[85:86], s[8:9], -v[101:102]
	v_add_f64 v[48:49], v[54:55], v[48:49]
	v_add_f64 v[44:45], v[44:45], v[52:53]
	v_fma_f64 v[52:53], v[85:86], s[8:9], v[101:102]
	v_fma_f64 v[54:55], v[83:84], s[18:19], -v[99:100]
	v_add_f64 v[38:39], v[107:108], v[38:39]
	v_fma_f64 v[107:108], v[87:88], s[26:27], -v[46:47]
	v_fma_f64 v[46:47], v[87:88], s[26:27], v[46:47]
	v_add_f64 v[48:49], v[52:53], v[48:49]
	v_fma_f64 v[52:53], v[103:104], s[4:5], v[115:116]
	v_add_f64 v[107:108], v[107:108], v[38:39]
	;; [unrolled: 2-line block ×3, first 2 shown]
	v_fma_f64 v[46:47], v[109:110], s[4:5], -v[113:114]
	v_add_f64 v[38:39], v[38:39], v[36:37]
	v_fma_f64 v[36:37], v[103:104], s[4:5], -v[115:116]
	v_add_f64 v[46:47], v[46:47], v[44:45]
	v_add_f64 v[44:45], v[52:53], v[48:49]
	v_fma_f64 v[48:49], v[72:73], s[6:7], -v[97:98]
	v_fma_f64 v[52:53], v[70:71], s[6:7], v[56:57]
	v_fma_f64 v[56:57], v[89:90], s[4:5], -v[121:122]
	v_add_f64 v[36:37], v[36:37], v[107:108]
	v_add_f64 v[48:49], v[48:49], v[50:51]
	v_fma_f64 v[50:51], v[81:82], s[18:19], v[117:118]
	v_add_f64 v[52:53], v[52:53], v[62:63]
	v_add_f64 v[48:49], v[54:55], v[48:49]
	v_fma_f64 v[54:55], v[85:86], s[4:5], v[125:126]
	v_add_f64 v[50:51], v[50:51], v[52:53]
	v_fma_f64 v[52:53], v[105:106], s[20:21], -v[111:112]
	v_add_f64 v[48:49], v[56:57], v[48:49]
	v_fma_f64 v[56:57], v[87:88], s[20:21], v[119:120]
	v_add_f64 v[50:51], v[54:55], v[50:51]
	v_fma_f64 v[54:55], v[109:110], s[8:9], -v[127:128]
	v_add_f64 v[48:49], v[52:53], v[48:49]
	v_fma_f64 v[52:53], v[103:104], s[8:9], v[129:130]
	v_add_f64 v[56:57], v[56:57], v[50:51]
	v_add_f64 v[50:51], v[54:55], v[48:49]
	;; [unrolled: 1-line block ×3, first 2 shown]
	v_mul_u32_u24_e32 v52, 0xd0, v69
	v_add3_u32 v52, 0, v52, v78
	ds_write_b128 v52, v[16:19]
	ds_write_b128 v52, v[32:35] offset:16
	ds_write_b128 v52, v[20:23] offset:32
	;; [unrolled: 1-line block ×12, first 2 shown]
.LBB0_14:
	s_or_b32 exec_lo, exec_lo, s1
	v_lshlrev_b32_e32 v12, 4, v69
	s_waitcnt lgkmcnt(0)
	s_barrier
	buffer_gl0_inv
	v_cmp_gt_u32_e64 s0, 26, v69
	v_add3_u32 v49, 0, v78, v12
	v_add3_u32 v48, 0, v12, v78
	ds_read_b128 v[16:19], v49
	ds_read_b128 v[12:15], v48 offset:624
	ds_read_b128 v[36:39], v48 offset:4576
	;; [unrolled: 1-line block ×8, first 2 shown]
	s_and_saveexec_b32 s1, s0
	s_cbranch_execz .LBB0_16
; %bb.15:
	ds_read_b128 v[0:3], v48 offset:1872
	ds_read_b128 v[4:7], v48 offset:4160
	;; [unrolled: 1-line block ×3, first 2 shown]
.LBB0_16:
	s_or_b32 exec_lo, exec_lo, s1
	v_add_nc_u16 v51, v69, 39
	v_and_b32_e32 v50, 0xff, v69
	v_add_nc_u16 v52, v69, 0x4e
	s_mov_b32 s4, 0xe8584caa
	s_mov_b32 s5, 0x3febb67a
	v_and_b32_e32 v53, 0xff, v51
	v_mul_lo_u16 v50, 0x4f, v50
	v_and_b32_e32 v54, 0xff, v52
	s_mov_b32 s7, 0xbfebb67a
	s_mov_b32 s6, s4
	v_mul_lo_u16 v53, 0x4f, v53
	v_lshrrev_b16 v63, 10, v50
	v_mul_lo_u16 v54, 0x4f, v54
	v_mov_b32_e32 v50, 5
	v_lshrrev_b16 v95, 10, v53
	v_mul_lo_u16 v53, v63, 13
	v_lshrrev_b16 v96, 10, v54
	v_and_b32_e32 v63, 0xffff, v63
	v_mul_lo_u16 v54, v95, 13
	v_sub_nc_u16 v97, v69, v53
	v_mul_lo_u16 v53, v96, 13
	v_mad_u32_u24 v63, 0x270, v63, 0
	v_sub_nc_u16 v98, v51, v54
	v_lshlrev_b32_sdwa v55, v50, v97 dst_sel:DWORD dst_unused:UNUSED_PAD src0_sel:DWORD src1_sel:BYTE_0
	v_sub_nc_u16 v99, v52, v53
	s_clause 0x1
	global_load_dwordx4 v[51:54], v55, s[12:13]
	global_load_dwordx4 v[55:58], v55, s[12:13] offset:16
	v_lshlrev_b32_sdwa v70, v50, v98 dst_sel:DWORD dst_unused:UNUSED_PAD src0_sel:DWORD src1_sel:BYTE_0
	v_lshlrev_b32_sdwa v79, v50, v99 dst_sel:DWORD dst_unused:UNUSED_PAD src0_sel:DWORD src1_sel:BYTE_0
	s_clause 0x3
	global_load_dwordx4 v[59:62], v70, s[12:13]
	global_load_dwordx4 v[70:73], v70, s[12:13] offset:16
	global_load_dwordx4 v[74:77], v79, s[12:13]
	global_load_dwordx4 v[79:82], v79, s[12:13] offset:16
	s_waitcnt vmcnt(0) lgkmcnt(0)
	s_barrier
	buffer_gl0_inv
	v_mul_f64 v[83:84], v[46:47], v[53:54]
	v_mul_f64 v[85:86], v[38:39], v[57:58]
	;; [unrolled: 1-line block ×12, first 2 shown]
	v_fma_f64 v[44:45], v[44:45], v[51:52], -v[83:84]
	v_fma_f64 v[36:37], v[36:37], v[55:56], -v[85:86]
	v_fma_f64 v[46:47], v[46:47], v[51:52], v[53:54]
	v_fma_f64 v[38:39], v[38:39], v[55:56], v[57:58]
	v_fma_f64 v[40:41], v[40:41], v[59:60], -v[87:88]
	v_fma_f64 v[24:25], v[24:25], v[70:71], -v[89:90]
	v_fma_f64 v[42:43], v[42:43], v[59:60], v[61:62]
	v_fma_f64 v[26:27], v[26:27], v[70:71], v[72:73]
	;; [unrolled: 4-line block ×3, first 2 shown]
	v_and_b32_e32 v87, 0xffff, v95
	v_and_b32_e32 v88, 0xffff, v96
	v_add_f64 v[70:71], v[16:17], v[44:45]
	v_add_f64 v[51:52], v[44:45], v[36:37]
	v_add_f64 v[44:45], v[44:45], -v[36:37]
	v_add_f64 v[53:54], v[46:47], v[38:39]
	v_add_f64 v[72:73], v[46:47], -v[38:39]
	v_add_f64 v[55:56], v[40:41], v[24:25]
	v_add_f64 v[46:47], v[18:19], v[46:47]
	;; [unrolled: 1-line block ×9, first 2 shown]
	v_add_f64 v[42:43], v[42:43], -v[26:27]
	v_add_f64 v[40:41], v[40:41], -v[24:25]
	;; [unrolled: 1-line block ×4, first 2 shown]
	v_fma_f64 v[51:52], v[51:52], -0.5, v[16:17]
	v_fma_f64 v[53:54], v[53:54], -0.5, v[18:19]
	;; [unrolled: 1-line block ×3, first 2 shown]
	v_mov_b32_e32 v12, 4
	v_fma_f64 v[57:58], v[57:58], -0.5, v[14:15]
	v_add_f64 v[13:14], v[70:71], v[36:37]
	v_fma_f64 v[59:60], v[59:60], -0.5, v[20:21]
	v_add_f64 v[15:16], v[46:47], v[38:39]
	;; [unrolled: 2-line block ×3, first 2 shown]
	v_add_f64 v[19:20], v[76:77], v[26:27]
	v_add_f64 v[21:22], v[79:80], v[32:33]
	;; [unrolled: 1-line block ×3, first 2 shown]
	v_mad_u32_u24 v46, 0x270, v87, 0
	v_mad_u32_u24 v47, 0x270, v88, 0
	v_fma_f64 v[25:26], v[72:73], s[4:5], v[51:52]
	v_fma_f64 v[29:30], v[72:73], s[6:7], v[51:52]
	;; [unrolled: 1-line block ×12, first 2 shown]
	v_lshlrev_b32_sdwa v45, v12, v97 dst_sel:DWORD dst_unused:UNUSED_PAD src0_sel:DWORD src1_sel:BYTE_0
	v_lshlrev_b32_sdwa v55, v12, v98 dst_sel:DWORD dst_unused:UNUSED_PAD src0_sel:DWORD src1_sel:BYTE_0
	;; [unrolled: 1-line block ×3, first 2 shown]
	v_add3_u32 v45, v63, v45, v78
	v_add3_u32 v46, v46, v55, v78
	v_add3_u32 v47, v47, v56, v78
	ds_write_b128 v45, v[13:16]
	ds_write_b128 v45, v[25:28] offset:208
	ds_write_b128 v45, v[29:32] offset:416
	ds_write_b128 v46, v[17:20]
	ds_write_b128 v46, v[33:36] offset:208
	ds_write_b128 v46, v[37:40] offset:416
	;; [unrolled: 3-line block ×3, first 2 shown]
	s_and_saveexec_b32 s1, s0
	s_cbranch_execz .LBB0_18
; %bb.17:
	v_add_nc_u16 v13, v69, 0x75
	v_and_b32_e32 v14, 0xff, v13
	v_mul_lo_u16 v14, 0x4f, v14
	v_lshrrev_b16 v25, 10, v14
	v_mul_lo_u16 v14, v25, 13
	v_sub_nc_u16 v26, v13, v14
	v_lshlrev_b32_sdwa v17, v50, v26 dst_sel:DWORD dst_unused:UNUSED_PAD src0_sel:DWORD src1_sel:BYTE_0
	v_lshlrev_b32_sdwa v12, v12, v26 dst_sel:DWORD dst_unused:UNUSED_PAD src0_sel:DWORD src1_sel:BYTE_0
	s_clause 0x1
	global_load_dwordx4 v[13:16], v17, s[12:13]
	global_load_dwordx4 v[17:20], v17, s[12:13] offset:16
	s_waitcnt vmcnt(1)
	v_mul_f64 v[21:22], v[4:5], v[15:16]
	s_waitcnt vmcnt(0)
	v_mul_f64 v[23:24], v[8:9], v[19:20]
	v_mul_f64 v[15:16], v[6:7], v[15:16]
	;; [unrolled: 1-line block ×3, first 2 shown]
	v_fma_f64 v[6:7], v[6:7], v[13:14], v[21:22]
	v_fma_f64 v[10:11], v[10:11], v[17:18], v[23:24]
	v_fma_f64 v[4:5], v[4:5], v[13:14], -v[15:16]
	v_fma_f64 v[8:9], v[8:9], v[17:18], -v[19:20]
	v_add_f64 v[19:20], v[2:3], v[6:7]
	v_add_f64 v[13:14], v[6:7], v[10:11]
	v_add_f64 v[21:22], v[6:7], -v[10:11]
	v_add_f64 v[15:16], v[4:5], v[8:9]
	v_add_f64 v[17:18], v[4:5], -v[8:9]
	v_add_f64 v[4:5], v[0:1], v[4:5]
	v_fma_f64 v[13:14], v[13:14], -0.5, v[2:3]
	v_add_f64 v[2:3], v[19:20], v[10:11]
	v_fma_f64 v[15:16], v[15:16], -0.5, v[0:1]
	v_add_f64 v[0:1], v[4:5], v[8:9]
	v_fma_f64 v[10:11], v[17:18], s[6:7], v[13:14]
	v_fma_f64 v[6:7], v[17:18], s[4:5], v[13:14]
	;; [unrolled: 1-line block ×4, first 2 shown]
	v_and_b32_e32 v13, 0xffff, v25
	v_mad_u32_u24 v13, 0x270, v13, 0
	v_add3_u32 v12, v13, v12, v78
	ds_write_b128 v12, v[0:3]
	ds_write_b128 v12, v[8:11] offset:208
	ds_write_b128 v12, v[4:7] offset:416
.LBB0_18:
	s_or_b32 exec_lo, exec_lo, s1
	s_waitcnt lgkmcnt(0)
	s_barrier
	buffer_gl0_inv
	s_and_saveexec_b32 s0, vcc_lo
	s_cbranch_execz .LBB0_20
; %bb.19:
	v_mul_u32_u24_e32 v0, 10, v69
	v_mul_lo_u32 v93, s2, v68
	v_mul_lo_u32 v92, s3, v67
	v_mad_u64_u32 v[62:63], null, s2, v67, 0
	v_lshlrev_b32_e32 v8, 4, v0
	v_mov_b32_e32 v67, 0
	s_mov_b32 s0, 0x640f44db
	s_mov_b32 s8, 0x43842ef
	s_mov_b32 s2, 0xd9c712b6
	s_clause 0x9
	global_load_dwordx4 v[4:7], v8, s[12:13] offset:480
	global_load_dwordx4 v[0:3], v8, s[12:13] offset:496
	;; [unrolled: 1-line block ×10, first 2 shown]
	ds_read_b128 v[44:47], v48 offset:3120
	ds_read_b128 v[50:53], v48 offset:2496
	;; [unrolled: 1-line block ×8, first 2 shown]
	ds_read_b128 v[8:11], v49
	ds_read_b128 v[84:87], v48 offset:624
	ds_read_b128 v[88:91], v48 offset:6240
	v_lshlrev_b64 v[48:49], 4, v[64:65]
	v_lshlrev_b64 v[64:65], 4, v[66:67]
	v_add3_u32 v63, v63, v93, v92
	s_mov_b32 s6, 0x8eee2c13
	s_mov_b32 s4, 0x7f775887
	;; [unrolled: 1-line block ×4, first 2 shown]
	v_lshlrev_b64 v[62:63], 4, v[62:63]
	s_mov_b32 s16, 0xf8bb580b
	s_mov_b32 s18, 0x9bcd5057
	;; [unrolled: 1-line block ×5, first 2 shown]
	v_add_co_u32 v62, vcc_lo, s10, v62
	v_add_co_ci_u32_e32 v63, vcc_lo, s11, v63, vcc_lo
	s_mov_b32 s3, 0x3fda9628
	s_mov_b32 s7, 0xbfed1bb4
	;; [unrolled: 1-line block ×18, first 2 shown]
	s_waitcnt vmcnt(9) lgkmcnt(10)
	v_mul_f64 v[66:67], v[4:5], v[46:47]
	v_mul_f64 v[46:47], v[6:7], v[46:47]
	s_waitcnt vmcnt(8) lgkmcnt(8)
	v_mul_f64 v[92:93], v[0:1], v[56:57]
	v_mul_f64 v[56:57], v[2:3], v[56:57]
	s_waitcnt vmcnt(7)
	v_mul_f64 v[94:95], v[16:17], v[52:53]
	v_mul_f64 v[52:53], v[18:19], v[52:53]
	s_waitcnt vmcnt(3) lgkmcnt(5)
	v_mul_f64 v[102:103], v[28:29], v[74:75]
	s_waitcnt vmcnt(2) lgkmcnt(3)
	;; [unrolled: 2-line block ×4, first 2 shown]
	v_mul_f64 v[108:109], v[40:41], v[90:91]
	v_mul_f64 v[86:87], v[38:39], v[86:87]
	;; [unrolled: 1-line block ×11, first 2 shown]
	v_fma_f64 v[6:7], v[6:7], v[44:45], v[66:67]
	v_fma_f64 v[4:5], v[44:45], v[4:5], -v[46:47]
	v_add_co_u32 v44, vcc_lo, v62, v48
	v_add_co_ci_u32_e32 v45, vcc_lo, v63, v49, vcc_lo
	v_fma_f64 v[2:3], v[2:3], v[54:55], v[92:93]
	v_add_co_u32 v44, vcc_lo, v44, v64
	v_fma_f64 v[38:39], v[38:39], v[84:85], v[106:107]
	v_fma_f64 v[42:43], v[42:43], v[88:89], v[108:109]
	v_fma_f64 v[36:37], v[84:85], v[36:37], -v[86:87]
	v_fma_f64 v[40:41], v[88:89], v[40:41], -v[90:91]
	;; [unrolled: 1-line block ×3, first 2 shown]
	v_fma_f64 v[30:31], v[30:31], v[72:73], v[102:103]
	v_fma_f64 v[34:35], v[34:35], v[80:81], v[104:105]
	v_fma_f64 v[28:29], v[72:73], v[28:29], -v[74:75]
	v_fma_f64 v[32:33], v[80:81], v[32:33], -v[82:83]
	v_add_co_ci_u32_e32 v45, vcc_lo, v45, v65, vcc_lo
	v_fma_f64 v[26:27], v[26:27], v[68:69], v[98:99]
	v_fma_f64 v[22:23], v[22:23], v[76:77], v[100:101]
	v_fma_f64 v[16:17], v[50:51], v[16:17], -v[52:53]
	v_fma_f64 v[24:25], v[68:69], v[24:25], -v[70:71]
	;; [unrolled: 1-line block ×3, first 2 shown]
	v_fma_f64 v[18:19], v[18:19], v[50:51], v[94:95]
	v_fma_f64 v[14:15], v[14:15], v[58:59], v[96:97]
	v_fma_f64 v[12:13], v[58:59], v[12:13], -v[60:61]
	v_add_f64 v[46:47], v[6:7], v[2:3]
	v_add_f64 v[56:57], v[6:7], -v[2:3]
	v_add_f64 v[54:55], v[38:39], v[42:43]
	v_add_f64 v[64:65], v[38:39], -v[42:43]
	v_add_f64 v[74:75], v[36:37], -v[40:41]
	v_add_f64 v[84:85], v[36:37], v[40:41]
	v_add_f64 v[38:39], v[10:11], v[38:39]
	;; [unrolled: 1-line block ×4, first 2 shown]
	v_add_f64 v[62:63], v[30:31], -v[34:35]
	v_add_f64 v[72:73], v[28:29], -v[32:33]
	v_add_f64 v[82:83], v[28:29], v[32:33]
	v_add_f64 v[66:67], v[4:5], -v[0:1]
	v_add_f64 v[50:51], v[26:27], v[22:23]
	;; [unrolled: 2-line block ×4, first 2 shown]
	v_add_f64 v[48:49], v[18:19], v[14:15]
	v_add_f64 v[58:59], v[18:19], -v[14:15]
	v_mul_f64 v[86:87], v[46:47], s[0:1]
	v_mul_f64 v[106:107], v[46:47], s[2:3]
	;; [unrolled: 1-line block ×8, first 2 shown]
	v_add_f64 v[30:31], v[30:31], v[38:39]
	v_add_f64 v[28:29], v[28:29], v[36:37]
	v_mul_f64 v[134:135], v[54:55], s[0:1]
	v_mul_f64 v[144:145], v[64:65], s[22:23]
	;; [unrolled: 1-line block ×7, first 2 shown]
	v_add_f64 v[68:69], v[16:17], -v[12:13]
	v_add_f64 v[78:79], v[16:17], v[12:13]
	v_mul_f64 v[92:93], v[52:53], s[14:15]
	v_mul_f64 v[102:103], v[62:63], s[28:29]
	;; [unrolled: 1-line block ×10, first 2 shown]
	v_fma_f64 v[36:37], v[66:67], s[8:9], v[86:87]
	v_add_f64 v[26:27], v[26:27], v[30:31]
	v_add_f64 v[24:25], v[24:25], v[28:29]
	v_fma_f64 v[86:87], v[66:67], s[22:23], v[86:87]
	v_fma_f64 v[182:183], v[66:67], s[6:7], v[106:107]
	;; [unrolled: 1-line block ×12, first 2 shown]
	v_fma_f64 v[64:65], v[84:85], s[14:15], -v[64:65]
	v_mul_f64 v[88:89], v[48:49], s[2:3]
	v_mul_f64 v[90:91], v[50:51], s[4:5]
	v_mul_f64 v[96:97], v[56:57], s[22:23]
	v_mul_f64 v[98:99], v[58:59], s[26:27]
	v_mul_f64 v[100:101], v[60:61], s[24:25]
	v_mul_f64 v[108:109], v[48:49], s[18:19]
	v_mul_f64 v[110:111], v[50:51], s[14:15]
	v_add_f64 v[18:19], v[18:19], v[26:27]
	v_add_f64 v[16:17], v[16:17], v[24:25]
	v_mul_f64 v[116:117], v[56:57], s[26:27]
	v_mul_f64 v[118:119], v[58:59], s[30:31]
	;; [unrolled: 1-line block ×18, first 2 shown]
	v_fma_f64 v[170:171], v[74:75], s[20:21], v[94:95]
	v_fma_f64 v[180:181], v[84:85], s[18:19], v[104:105]
	;; [unrolled: 1-line block ×3, first 2 shown]
	v_fma_f64 v[104:105], v[84:85], s[18:19], -v[104:105]
	v_fma_f64 v[190:191], v[74:75], s[12:13], v[114:115]
	v_fma_f64 v[200:201], v[84:85], s[4:5], v[124:125]
	;; [unrolled: 1-line block ×3, first 2 shown]
	v_fma_f64 v[124:125], v[84:85], s[4:5], -v[124:125]
	v_fma_f64 v[210:211], v[74:75], s[8:9], v[134:135]
	v_fma_f64 v[226:227], v[74:75], s[26:27], v[154:155]
	;; [unrolled: 1-line block ×4, first 2 shown]
	v_fma_f64 v[164:165], v[84:85], s[2:3], -v[164:165]
	v_fma_f64 v[220:221], v[84:85], s[0:1], v[144:145]
	v_fma_f64 v[134:135], v[74:75], s[22:23], v[134:135]
	v_fma_f64 v[144:145], v[84:85], s[0:1], -v[144:145]
	v_add_f64 v[6:7], v[6:7], v[18:19]
	v_add_f64 v[4:5], v[4:5], v[16:17]
	v_fma_f64 v[240:241], v[72:73], s[26:27], v[52:53]
	v_fma_f64 v[250:251], v[82:83], s[2:3], v[62:63]
	;; [unrolled: 1-line block ×3, first 2 shown]
	v_fma_f64 v[62:63], v[82:83], s[2:3], -v[62:63]
	v_add_f64 v[54:55], v[10:11], v[54:55]
	v_add_f64 v[64:65], v[8:9], v[64:65]
	v_fma_f64 v[38:39], v[68:69], s[6:7], v[88:89]
	v_fma_f64 v[166:167], v[70:71], s[12:13], v[90:91]
	;; [unrolled: 1-line block ×10, first 2 shown]
	v_fma_f64 v[96:97], v[76:77], s[0:1], -v[96:97]
	v_fma_f64 v[98:99], v[78:79], s[2:3], -v[98:99]
	;; [unrolled: 1-line block ×4, first 2 shown]
	v_fma_f64 v[184:185], v[68:69], s[20:21], v[108:109]
	v_fma_f64 v[186:187], v[70:71], s[28:29], v[110:111]
	;; [unrolled: 1-line block ×10, first 2 shown]
	v_fma_f64 v[116:117], v[76:77], s[2:3], -v[116:117]
	v_fma_f64 v[118:119], v[78:79], s[18:19], -v[118:119]
	;; [unrolled: 1-line block ×4, first 2 shown]
	v_fma_f64 v[204:205], v[68:69], s[28:29], v[128:129]
	v_fma_f64 v[206:207], v[70:71], s[6:7], v[130:131]
	;; [unrolled: 1-line block ×9, first 2 shown]
	v_fma_f64 v[136:137], v[76:77], s[4:5], -v[136:137]
	v_fma_f64 v[138:139], v[78:79], s[14:15], -v[138:139]
	;; [unrolled: 1-line block ×3, first 2 shown]
	v_fma_f64 v[28:29], v[68:69], s[22:23], v[148:149]
	v_fma_f64 v[30:31], v[70:71], s[30:31], v[150:151]
	;; [unrolled: 1-line block ×10, first 2 shown]
	v_fma_f64 v[156:157], v[76:77], s[14:15], -v[156:157]
	v_fma_f64 v[158:159], v[78:79], s[0:1], -v[158:159]
	;; [unrolled: 1-line block ×4, first 2 shown]
	v_fma_f64 v[24:25], v[68:69], s[12:13], v[48:49]
	v_fma_f64 v[26:27], v[70:71], s[8:9], v[50:51]
	v_fma_f64 v[244:245], v[76:77], s[18:19], v[56:57]
	v_fma_f64 v[246:247], v[78:79], s[4:5], v[58:59]
	v_fma_f64 v[248:249], v[80:81], s[0:1], v[60:61]
	v_fma_f64 v[48:49], v[68:69], s[24:25], v[48:49]
	v_fma_f64 v[50:51], v[70:71], s[22:23], v[50:51]
	v_fma_f64 v[56:57], v[76:77], s[18:19], -v[56:57]
	v_fma_f64 v[58:59], v[78:79], s[4:5], -v[58:59]
	;; [unrolled: 1-line block ×3, first 2 shown]
	v_add_f64 v[16:17], v[10:11], v[170:171]
	v_add_f64 v[18:19], v[8:9], v[180:181]
	;; [unrolled: 1-line block ×11, first 2 shown]
	v_fma_f64 v[218:219], v[82:83], s[18:19], v[142:143]
	v_fma_f64 v[142:143], v[82:83], s[18:19], -v[142:143]
	v_add_f64 v[82:83], v[10:11], v[134:135]
	v_add_f64 v[104:105], v[8:9], v[144:145]
	;; [unrolled: 1-line block ×97, first 2 shown]
	v_add_co_u32 v46, vcc_lo, 0x800, v44
	v_add_co_ci_u32_e32 v47, vcc_lo, 0, v45, vcc_lo
	v_add_co_u32 v48, vcc_lo, 0x1000, v44
	v_add_co_ci_u32_e32 v49, vcc_lo, 0, v45, vcc_lo
	;; [unrolled: 2-line block ×3, first 2 shown]
	global_store_dwordx4 v[44:45], v[28:31], off offset:624
	global_store_dwordx4 v[44:45], v[24:27], off offset:1248
	;; [unrolled: 1-line block ×9, first 2 shown]
	global_store_dwordx4 v[44:45], v[40:43], off
	global_store_dwordx4 v[50:51], v[36:39], off offset:96
.LBB0_20:
	s_endpgm
	.section	.rodata,"a",@progbits
	.p2align	6, 0x0
	.amdhsa_kernel fft_rtc_fwd_len429_factors_13_3_11_wgs_117_tpt_39_dp_op_CI_CI_unitstride_sbrr_dirReg
		.amdhsa_group_segment_fixed_size 0
		.amdhsa_private_segment_fixed_size 0
		.amdhsa_kernarg_size 104
		.amdhsa_user_sgpr_count 6
		.amdhsa_user_sgpr_private_segment_buffer 1
		.amdhsa_user_sgpr_dispatch_ptr 0
		.amdhsa_user_sgpr_queue_ptr 0
		.amdhsa_user_sgpr_kernarg_segment_ptr 1
		.amdhsa_user_sgpr_dispatch_id 0
		.amdhsa_user_sgpr_flat_scratch_init 0
		.amdhsa_user_sgpr_private_segment_size 0
		.amdhsa_wavefront_size32 1
		.amdhsa_uses_dynamic_stack 0
		.amdhsa_system_sgpr_private_segment_wavefront_offset 0
		.amdhsa_system_sgpr_workgroup_id_x 1
		.amdhsa_system_sgpr_workgroup_id_y 0
		.amdhsa_system_sgpr_workgroup_id_z 0
		.amdhsa_system_sgpr_workgroup_info 0
		.amdhsa_system_vgpr_workitem_id 0
		.amdhsa_next_free_vgpr 252
		.amdhsa_next_free_sgpr 44
		.amdhsa_reserve_vcc 1
		.amdhsa_reserve_flat_scratch 0
		.amdhsa_float_round_mode_32 0
		.amdhsa_float_round_mode_16_64 0
		.amdhsa_float_denorm_mode_32 3
		.amdhsa_float_denorm_mode_16_64 3
		.amdhsa_dx10_clamp 1
		.amdhsa_ieee_mode 1
		.amdhsa_fp16_overflow 0
		.amdhsa_workgroup_processor_mode 1
		.amdhsa_memory_ordered 1
		.amdhsa_forward_progress 0
		.amdhsa_shared_vgpr_count 0
		.amdhsa_exception_fp_ieee_invalid_op 0
		.amdhsa_exception_fp_denorm_src 0
		.amdhsa_exception_fp_ieee_div_zero 0
		.amdhsa_exception_fp_ieee_overflow 0
		.amdhsa_exception_fp_ieee_underflow 0
		.amdhsa_exception_fp_ieee_inexact 0
		.amdhsa_exception_int_div_zero 0
	.end_amdhsa_kernel
	.text
.Lfunc_end0:
	.size	fft_rtc_fwd_len429_factors_13_3_11_wgs_117_tpt_39_dp_op_CI_CI_unitstride_sbrr_dirReg, .Lfunc_end0-fft_rtc_fwd_len429_factors_13_3_11_wgs_117_tpt_39_dp_op_CI_CI_unitstride_sbrr_dirReg
                                        ; -- End function
	.section	.AMDGPU.csdata,"",@progbits
; Kernel info:
; codeLenInByte = 10320
; NumSgprs: 46
; NumVgprs: 252
; ScratchSize: 0
; MemoryBound: 1
; FloatMode: 240
; IeeeMode: 1
; LDSByteSize: 0 bytes/workgroup (compile time only)
; SGPRBlocks: 5
; VGPRBlocks: 31
; NumSGPRsForWavesPerEU: 46
; NumVGPRsForWavesPerEU: 252
; Occupancy: 4
; WaveLimiterHint : 1
; COMPUTE_PGM_RSRC2:SCRATCH_EN: 0
; COMPUTE_PGM_RSRC2:USER_SGPR: 6
; COMPUTE_PGM_RSRC2:TRAP_HANDLER: 0
; COMPUTE_PGM_RSRC2:TGID_X_EN: 1
; COMPUTE_PGM_RSRC2:TGID_Y_EN: 0
; COMPUTE_PGM_RSRC2:TGID_Z_EN: 0
; COMPUTE_PGM_RSRC2:TIDIG_COMP_CNT: 0
	.text
	.p2alignl 6, 3214868480
	.fill 48, 4, 3214868480
	.type	__hip_cuid_c6e87a6d0c331b52,@object ; @__hip_cuid_c6e87a6d0c331b52
	.section	.bss,"aw",@nobits
	.globl	__hip_cuid_c6e87a6d0c331b52
__hip_cuid_c6e87a6d0c331b52:
	.byte	0                               ; 0x0
	.size	__hip_cuid_c6e87a6d0c331b52, 1

	.ident	"AMD clang version 19.0.0git (https://github.com/RadeonOpenCompute/llvm-project roc-6.4.0 25133 c7fe45cf4b819c5991fe208aaa96edf142730f1d)"
	.section	".note.GNU-stack","",@progbits
	.addrsig
	.addrsig_sym __hip_cuid_c6e87a6d0c331b52
	.amdgpu_metadata
---
amdhsa.kernels:
  - .args:
      - .actual_access:  read_only
        .address_space:  global
        .offset:         0
        .size:           8
        .value_kind:     global_buffer
      - .offset:         8
        .size:           8
        .value_kind:     by_value
      - .actual_access:  read_only
        .address_space:  global
        .offset:         16
        .size:           8
        .value_kind:     global_buffer
      - .actual_access:  read_only
        .address_space:  global
        .offset:         24
        .size:           8
        .value_kind:     global_buffer
      - .actual_access:  read_only
        .address_space:  global
        .offset:         32
        .size:           8
        .value_kind:     global_buffer
      - .offset:         40
        .size:           8
        .value_kind:     by_value
      - .actual_access:  read_only
        .address_space:  global
        .offset:         48
        .size:           8
        .value_kind:     global_buffer
      - .actual_access:  read_only
        .address_space:  global
        .offset:         56
        .size:           8
        .value_kind:     global_buffer
      - .offset:         64
        .size:           4
        .value_kind:     by_value
      - .actual_access:  read_only
        .address_space:  global
        .offset:         72
        .size:           8
        .value_kind:     global_buffer
      - .actual_access:  read_only
        .address_space:  global
        .offset:         80
        .size:           8
        .value_kind:     global_buffer
      - .actual_access:  read_only
        .address_space:  global
        .offset:         88
        .size:           8
        .value_kind:     global_buffer
      - .actual_access:  write_only
        .address_space:  global
        .offset:         96
        .size:           8
        .value_kind:     global_buffer
    .group_segment_fixed_size: 0
    .kernarg_segment_align: 8
    .kernarg_segment_size: 104
    .language:       OpenCL C
    .language_version:
      - 2
      - 0
    .max_flat_workgroup_size: 117
    .name:           fft_rtc_fwd_len429_factors_13_3_11_wgs_117_tpt_39_dp_op_CI_CI_unitstride_sbrr_dirReg
    .private_segment_fixed_size: 0
    .sgpr_count:     46
    .sgpr_spill_count: 0
    .symbol:         fft_rtc_fwd_len429_factors_13_3_11_wgs_117_tpt_39_dp_op_CI_CI_unitstride_sbrr_dirReg.kd
    .uniform_work_group_size: 1
    .uses_dynamic_stack: false
    .vgpr_count:     252
    .vgpr_spill_count: 0
    .wavefront_size: 32
    .workgroup_processor_mode: 1
amdhsa.target:   amdgcn-amd-amdhsa--gfx1030
amdhsa.version:
  - 1
  - 2
...

	.end_amdgpu_metadata
